;; amdgpu-corpus repo=ROCm/rocFFT kind=compiled arch=gfx1100 opt=O3
	.text
	.amdgcn_target "amdgcn-amd-amdhsa--gfx1100"
	.amdhsa_code_object_version 6
	.protected	bluestein_single_back_len896_dim1_dp_op_CI_CI ; -- Begin function bluestein_single_back_len896_dim1_dp_op_CI_CI
	.globl	bluestein_single_back_len896_dim1_dp_op_CI_CI
	.p2align	8
	.type	bluestein_single_back_len896_dim1_dp_op_CI_CI,@function
bluestein_single_back_len896_dim1_dp_op_CI_CI: ; @bluestein_single_back_len896_dim1_dp_op_CI_CI
; %bb.0:
	s_load_b128 s[16:19], s[0:1], 0x28
	v_mul_u32_u24_e32 v1, 0x24a, v0
	s_mov_b32 s2, exec_lo
	v_mov_b32_e32 v177, 0
	s_delay_alu instid0(VALU_DEP_2) | instskip(NEXT) | instid1(VALU_DEP_1)
	v_lshrrev_b32_e32 v1, 16, v1
	v_add_nc_u32_e32 v176, s15, v1
	s_waitcnt lgkmcnt(0)
	s_delay_alu instid0(VALU_DEP_1)
	v_cmpx_gt_u64_e64 s[16:17], v[176:177]
	s_cbranch_execz .LBB0_10
; %bb.1:
	s_clause 0x1
	s_load_b128 s[4:7], s[0:1], 0x18
	s_load_b128 s[8:11], s[0:1], 0x0
	v_mul_lo_u16 v1, 0x70, v1
                                        ; implicit-def: $vgpr152_vgpr153
                                        ; implicit-def: $vgpr160_vgpr161
                                        ; implicit-def: $vgpr156_vgpr157
                                        ; implicit-def: $vgpr164_vgpr165
                                        ; implicit-def: $vgpr168_vgpr169
                                        ; implicit-def: $vgpr172_vgpr173
	s_delay_alu instid0(VALU_DEP_1) | instskip(NEXT) | instid1(VALU_DEP_1)
	v_sub_nc_u16 v32, v0, v1
	v_and_b32_e32 v181, 0xffff, v32
	s_delay_alu instid0(VALU_DEP_1) | instskip(SKIP_3) | instid1(VALU_DEP_1)
	v_lshlrev_b32_e32 v195, 5, v181
	v_and_b32_e32 v124, 63, v181
	s_waitcnt lgkmcnt(0)
	s_load_b128 s[12:15], s[4:5], 0x0
	v_lshlrev_b32_e32 v100, 4, v124
	s_waitcnt lgkmcnt(0)
	v_mad_u64_u32 v[12:13], null, s14, v176, 0
	v_mad_u64_u32 v[14:15], null, s12, v181, 0
	s_mul_hi_u32 s3, s12, 0x1c00
	s_mul_i32 s4, s12, 0x1c00
	s_mul_i32 s5, s13, 0xffffeb00
	;; [unrolled: 1-line block ×3, first 2 shown]
	s_delay_alu instid0(VALU_DEP_1) | instskip(NEXT) | instid1(VALU_DEP_1)
	v_mad_u64_u32 v[16:17], null, s15, v176, v[13:14]
	v_dual_mov_b32 v13, v16 :: v_dual_lshlrev_b32 v182, 4, v181
	s_delay_alu instid0(VALU_DEP_1) | instskip(SKIP_2) | instid1(VALU_DEP_3)
	v_add_co_u32 v19, s2, s8, v182
	v_mad_u64_u32 v[17:18], null, s13, v181, v[15:16]
	v_add_co_ci_u32_e64 v20, null, s9, 0, s2
	v_add_co_u32 v24, vcc_lo, 0x1000, v19
	v_lshlrev_b64 v[12:13], 4, v[12:13]
	s_delay_alu instid0(VALU_DEP_3)
	v_add_co_ci_u32_e32 v25, vcc_lo, 0, v20, vcc_lo
	v_add_co_u32 v26, vcc_lo, 0x2000, v19
	v_mov_b32_e32 v15, v17
	v_add_co_ci_u32_e32 v27, vcc_lo, 0, v20, vcc_lo
	v_add_co_u32 v28, vcc_lo, 0x3000, v19
	v_add_co_ci_u32_e32 v29, vcc_lo, 0, v20, vcc_lo
	s_delay_alu instid0(VALU_DEP_4) | instskip(SKIP_3) | instid1(VALU_DEP_2)
	v_lshlrev_b64 v[14:15], 4, v[14:15]
	v_add_co_u32 v12, vcc_lo, s18, v12
	v_add_co_ci_u32_e32 v13, vcc_lo, s19, v13, vcc_lo
	s_mul_i32 s2, s13, 0x1c00
	v_add_co_u32 v30, vcc_lo, v12, v14
	s_delay_alu instid0(VALU_DEP_2) | instskip(SKIP_1) | instid1(VALU_DEP_2)
	v_add_co_ci_u32_e32 v31, vcc_lo, v13, v15, vcc_lo
	s_add_i32 s3, s3, s2
	v_add_co_u32 v37, vcc_lo, v30, s4
	s_mul_hi_u32 s13, s12, 0xffffeb00
	s_delay_alu instid0(VALU_DEP_2) | instskip(SKIP_1) | instid1(VALU_DEP_2)
	v_add_co_ci_u32_e32 v38, vcc_lo, s3, v31, vcc_lo
	s_sub_i32 s2, s13, s12
	v_add_co_u32 v41, vcc_lo, v37, s14
	s_add_i32 s2, s2, s5
	s_clause 0x2
	global_load_b128 v[0:3], v182, s[8:9]
	global_load_b128 v[4:7], v182, s[8:9] offset:1792
	global_load_b128 v[8:11], v182, s[8:9] offset:3584
	v_add_co_ci_u32_e32 v42, vcc_lo, s2, v38, vcc_lo
	v_add_co_u32 v45, vcc_lo, v41, s4
	global_load_b128 v[20:23], v[24:25], off offset:3072
	v_add_co_ci_u32_e32 v46, vcc_lo, s3, v42, vcc_lo
	s_clause 0x1
	global_load_b128 v[16:19], v[26:27], off offset:768
	global_load_b128 v[12:15], v[26:27], off offset:2560
	v_add_co_u32 v26, vcc_lo, v45, s14
	v_add_co_ci_u32_e32 v27, vcc_lo, s2, v46, vcc_lo
	s_clause 0x1
	global_load_b128 v[33:36], v[30:31], off
	global_load_b128 v[37:40], v[37:38], off
	v_add_co_u32 v30, vcc_lo, v26, s4
	v_add_co_ci_u32_e32 v31, vcc_lo, s3, v27, vcc_lo
	s_clause 0x1
	global_load_b128 v[41:44], v[41:42], off
	global_load_b128 v[45:48], v[45:46], off
	v_add_co_u32 v57, vcc_lo, v30, s14
	v_add_co_ci_u32_e32 v58, vcc_lo, s2, v31, vcc_lo
	global_load_b128 v[49:52], v[26:27], off
	v_add_co_u32 v61, vcc_lo, v57, s4
	v_add_co_ci_u32_e32 v62, vcc_lo, s3, v58, vcc_lo
	global_load_b128 v[53:56], v[30:31], off
	global_load_b128 v[24:27], v[24:25], off offset:1280
	global_load_b128 v[57:60], v[57:58], off
	global_load_b128 v[28:31], v[28:29], off offset:256
	global_load_b128 v[61:64], v[61:62], off
	s_load_b128 s[4:7], s[6:7], 0x0
	s_load_b64 s[2:3], s[0:1], 0x38
	v_cmp_gt_u16_e32 vcc_lo, 16, v32
	s_waitcnt vmcnt(9)
	v_mul_f64 v[65:66], v[35:36], v[2:3]
	v_mul_f64 v[67:68], v[33:34], v[2:3]
	s_waitcnt vmcnt(8)
	v_mul_f64 v[69:70], v[39:40], v[22:23]
	v_mul_f64 v[71:72], v[37:38], v[22:23]
	;; [unrolled: 3-line block ×5, first 2 shown]
	s_waitcnt vmcnt(4)
	v_mul_f64 v[85:86], v[55:56], v[14:15]
	s_waitcnt vmcnt(2)
	v_mul_f64 v[89:90], v[59:60], v[26:27]
	v_mul_f64 v[91:92], v[57:58], v[26:27]
	;; [unrolled: 1-line block ×3, first 2 shown]
	s_waitcnt vmcnt(0)
	v_mul_f64 v[93:94], v[63:64], v[30:31]
	v_mul_f64 v[95:96], v[61:62], v[30:31]
	v_fma_f64 v[33:34], v[33:34], v[0:1], v[65:66]
	v_fma_f64 v[35:36], v[35:36], v[0:1], -v[67:68]
	v_fma_f64 v[37:38], v[37:38], v[20:21], v[69:70]
	v_fma_f64 v[39:40], v[39:40], v[20:21], -v[71:72]
	;; [unrolled: 2-line block ×4, first 2 shown]
	v_and_b32_e32 v76, 1, v181
	v_and_b32_e32 v80, 3, v181
	v_fma_f64 v[49:50], v[49:50], v[8:9], v[81:82]
	v_fma_f64 v[51:52], v[51:52], v[8:9], -v[83:84]
	v_fma_f64 v[53:54], v[53:54], v[12:13], v[85:86]
	v_fma_f64 v[57:58], v[57:58], v[24:25], v[89:90]
	v_fma_f64 v[59:60], v[59:60], v[24:25], -v[91:92]
	v_fma_f64 v[55:56], v[55:56], v[12:13], -v[87:88]
	v_fma_f64 v[61:62], v[61:62], v[28:29], v[93:94]
	v_fma_f64 v[63:64], v[63:64], v[28:29], -v[95:96]
	v_lshlrev_b32_e32 v81, 4, v80
	v_and_b32_e32 v84, 7, v181
	v_and_b32_e32 v88, 15, v181
	;; [unrolled: 1-line block ×3, first 2 shown]
	ds_store_b128 v182, v[33:36]
	ds_store_b128 v182, v[41:44] offset:1792
	ds_store_b128 v182, v[37:40] offset:7168
	;; [unrolled: 1-line block ×7, first 2 shown]
	s_waitcnt lgkmcnt(0)
	s_barrier
	buffer_gl0_inv
	ds_load_b128 v[33:36], v182 offset:7168
	ds_load_b128 v[37:40], v182
	ds_load_b128 v[41:44], v182 offset:1792
	ds_load_b128 v[45:48], v182 offset:8960
	;; [unrolled: 1-line block ×6, first 2 shown]
	s_waitcnt lgkmcnt(0)
	s_barrier
	buffer_gl0_inv
	v_lshlrev_b32_e32 v85, 4, v84
	v_lshlrev_b32_e32 v89, 4, v88
	;; [unrolled: 1-line block ×3, first 2 shown]
	v_add_f64 v[65:66], v[37:38], -v[33:34]
	v_add_nc_u32_e32 v34, 0x150, v181
	v_add_f64 v[67:68], v[39:40], -v[35:36]
	v_add_f64 v[45:46], v[41:42], -v[45:46]
	;; [unrolled: 1-line block ×7, first 2 shown]
	v_add_co_u32 v33, null, 0x70, v181
	v_add_nc_u32_e32 v35, 0xe0, v181
	v_lshlrev_b32_e32 v183, 5, v34
	v_and_b32_e32 v97, 31, v34
	s_delay_alu instid0(VALU_DEP_4)
	v_lshlrev_b32_e32 v190, 5, v33
	v_and_b32_e32 v98, 31, v33
	v_lshlrev_b32_e32 v185, 5, v35
	v_and_b32_e32 v127, 63, v34
	v_and_b32_e32 v125, 63, v33
	;; [unrolled: 1-line block ×3, first 2 shown]
	v_fma_f64 v[36:37], v[37:38], 2.0, -v[65:66]
	v_fma_f64 v[38:39], v[39:40], 2.0, -v[67:68]
	;; [unrolled: 1-line block ×8, first 2 shown]
	v_lshlrev_b32_e32 v44, 4, v76
	ds_store_b128 v195, v[36:39]
	ds_store_b128 v195, v[65:68] offset:16
	ds_store_b128 v190, v[40:43]
	ds_store_b128 v190, v[45:48] offset:16
	ds_store_b128 v185, v[49:52] offset:16
	;; [unrolled: 1-line block ×5, first 2 shown]
	s_waitcnt lgkmcnt(0)
	s_barrier
	buffer_gl0_inv
	global_load_b128 v[56:59], v44, s[10:11]
	ds_load_b128 v[36:39], v182 offset:7168
	ds_load_b128 v[40:43], v182 offset:8960
	;; [unrolled: 1-line block ×4, first 2 shown]
	s_waitcnt vmcnt(0) lgkmcnt(3)
	v_mul_f64 v[52:53], v[38:39], v[58:59]
	v_mul_f64 v[54:55], v[36:37], v[58:59]
	s_waitcnt lgkmcnt(2)
	v_mul_f64 v[60:61], v[42:43], v[58:59]
	v_mul_f64 v[62:63], v[40:41], v[58:59]
	s_waitcnt lgkmcnt(1)
	;; [unrolled: 3-line block ×3, first 2 shown]
	v_mul_f64 v[68:69], v[50:51], v[58:59]
	v_mul_f64 v[70:71], v[48:49], v[58:59]
	v_fma_f64 v[52:53], v[36:37], v[56:57], -v[52:53]
	v_fma_f64 v[54:55], v[38:39], v[56:57], v[54:55]
	v_fma_f64 v[60:61], v[40:41], v[56:57], -v[60:61]
	v_fma_f64 v[62:63], v[42:43], v[56:57], v[62:63]
	;; [unrolled: 2-line block ×4, first 2 shown]
	ds_load_b128 v[36:39], v182
	ds_load_b128 v[40:43], v182 offset:1792
	ds_load_b128 v[44:47], v182 offset:3584
	ds_load_b128 v[48:51], v182 offset:5376
	s_waitcnt lgkmcnt(0)
	s_barrier
	buffer_gl0_inv
	v_add_f64 v[52:53], v[36:37], -v[52:53]
	v_add_f64 v[54:55], v[38:39], -v[54:55]
	;; [unrolled: 1-line block ×8, first 2 shown]
	v_fma_f64 v[72:73], v[36:37], 2.0, -v[52:53]
	v_fma_f64 v[74:75], v[38:39], 2.0, -v[54:55]
	;; [unrolled: 1-line block ×8, first 2 shown]
	v_lshlrev_b32_e32 v39, 1, v181
	v_lshlrev_b32_e32 v38, 1, v33
	;; [unrolled: 1-line block ×4, first 2 shown]
	s_delay_alu instid0(VALU_DEP_4) | instskip(NEXT) | instid1(VALU_DEP_4)
	v_and_or_b32 v77, 0xfc, v39, v76
	v_and_or_b32 v78, 0x1fc, v38, v76
	s_delay_alu instid0(VALU_DEP_4) | instskip(NEXT) | instid1(VALU_DEP_4)
	v_and_or_b32 v79, 0x3fc, v37, v76
	v_and_or_b32 v76, 0x3fc, v36, v76
	;; [unrolled: 1-line block ×3, first 2 shown]
	v_lshlrev_b32_e32 v199, 4, v77
	v_lshlrev_b32_e32 v194, 4, v78
	;; [unrolled: 1-line block ×4, first 2 shown]
	ds_store_b128 v199, v[72:75]
	ds_store_b128 v199, v[52:55] offset:32
	ds_store_b128 v194, v[40:43]
	ds_store_b128 v194, v[60:63] offset:32
	;; [unrolled: 2-line block ×4, first 2 shown]
	s_waitcnt lgkmcnt(0)
	s_barrier
	buffer_gl0_inv
	global_load_b128 v[60:63], v81, s[10:11] offset:32
	ds_load_b128 v[40:43], v182 offset:7168
	ds_load_b128 v[44:47], v182 offset:8960
	ds_load_b128 v[48:51], v182 offset:10752
	ds_load_b128 v[52:55], v182 offset:12544
	v_and_or_b32 v81, 0xf8, v39, v80
	v_and_or_b32 v83, 0x3f8, v37, v80
	;; [unrolled: 1-line block ×3, first 2 shown]
	v_lshlrev_b32_e32 v198, 4, v82
	v_and_or_b32 v86, 0x1f0, v38, v84
	v_lshlrev_b32_e32 v202, 4, v81
	v_lshlrev_b32_e32 v193, 4, v83
	;; [unrolled: 1-line block ×3, first 2 shown]
	v_and_or_b32 v87, 0x3f0, v37, v84
	v_lshlrev_b32_e32 v201, 4, v86
	v_and_or_b32 v91, 0x1e0, v38, v88
	v_and_or_b32 v92, 0x3e0, v37, v88
	;; [unrolled: 1-line block ×3, first 2 shown]
	v_lshlrev_b32_e32 v196, 4, v87
	v_and_or_b32 v34, 0x1c0, v38, v98
	v_lshlrev_b32_e32 v205, 4, v91
	v_lshlrev_b32_e32 v203, 4, v92
	v_and_or_b32 v35, 0x3c0, v37, v96
	v_lshlrev_b32_e32 v210, 4, v99
	v_and_or_b32 v96, 0x3c0, v36, v97
	v_lshlrev_b32_e32 v209, 4, v34
	v_lshlrev_b32_e32 v34, 4, v127
	;; [unrolled: 1-line block ×3, first 2 shown]
	v_and_or_b32 v37, 0x380, v37, v126
	v_lshlrev_b32_e32 v207, 4, v96
	s_delay_alu instid0(VALU_DEP_2)
	v_lshlrev_b32_e32 v188, 4, v37
	s_waitcnt vmcnt(0) lgkmcnt(3)
	v_mul_f64 v[64:65], v[42:43], v[62:63]
	v_mul_f64 v[66:67], v[40:41], v[62:63]
	s_waitcnt lgkmcnt(2)
	v_mul_f64 v[68:69], v[46:47], v[62:63]
	v_mul_f64 v[70:71], v[44:45], v[62:63]
	s_waitcnt lgkmcnt(1)
	;; [unrolled: 3-line block ×3, first 2 shown]
	v_mul_f64 v[76:77], v[54:55], v[62:63]
	v_mul_f64 v[78:79], v[52:53], v[62:63]
	v_fma_f64 v[64:65], v[40:41], v[60:61], -v[64:65]
	v_fma_f64 v[66:67], v[42:43], v[60:61], v[66:67]
	v_fma_f64 v[68:69], v[44:45], v[60:61], -v[68:69]
	v_fma_f64 v[70:71], v[46:47], v[60:61], v[70:71]
	;; [unrolled: 2-line block ×4, first 2 shown]
	ds_load_b128 v[40:43], v182
	ds_load_b128 v[44:47], v182 offset:1792
	ds_load_b128 v[48:51], v182 offset:3584
	;; [unrolled: 1-line block ×3, first 2 shown]
	s_waitcnt lgkmcnt(0)
	s_barrier
	buffer_gl0_inv
	v_add_f64 v[64:65], v[40:41], -v[64:65]
	v_add_f64 v[66:67], v[42:43], -v[66:67]
	;; [unrolled: 1-line block ×8, first 2 shown]
	v_fma_f64 v[40:41], v[40:41], 2.0, -v[64:65]
	v_fma_f64 v[42:43], v[42:43], 2.0, -v[66:67]
	;; [unrolled: 1-line block ×8, first 2 shown]
	ds_store_b128 v202, v[40:43]
	ds_store_b128 v202, v[64:67] offset:64
	ds_store_b128 v198, v[44:47]
	ds_store_b128 v198, v[68:71] offset:64
	;; [unrolled: 2-line block ×4, first 2 shown]
	s_waitcnt lgkmcnt(0)
	s_barrier
	buffer_gl0_inv
	global_load_b128 v[64:67], v85, s[10:11] offset:96
	ds_load_b128 v[40:43], v182 offset:7168
	ds_load_b128 v[44:47], v182 offset:8960
	;; [unrolled: 1-line block ×4, first 2 shown]
	v_and_or_b32 v85, 0xf0, v39, v84
	v_and_or_b32 v84, 0x3f0, v36, v84
	s_delay_alu instid0(VALU_DEP_2) | instskip(NEXT) | instid1(VALU_DEP_2)
	v_lshlrev_b32_e32 v204, 4, v85
	v_lshlrev_b32_e32 v191, 4, v84
	s_waitcnt vmcnt(0) lgkmcnt(3)
	v_mul_f64 v[68:69], v[42:43], v[66:67]
	v_mul_f64 v[70:71], v[40:41], v[66:67]
	s_waitcnt lgkmcnt(2)
	v_mul_f64 v[72:73], v[46:47], v[66:67]
	v_mul_f64 v[74:75], v[44:45], v[66:67]
	s_waitcnt lgkmcnt(1)
	v_mul_f64 v[76:77], v[50:51], v[66:67]
	v_mul_f64 v[78:79], v[48:49], v[66:67]
	s_waitcnt lgkmcnt(0)
	v_mul_f64 v[80:81], v[54:55], v[66:67]
	v_mul_f64 v[82:83], v[52:53], v[66:67]
	v_fma_f64 v[68:69], v[40:41], v[64:65], -v[68:69]
	v_fma_f64 v[70:71], v[42:43], v[64:65], v[70:71]
	v_fma_f64 v[72:73], v[44:45], v[64:65], -v[72:73]
	v_fma_f64 v[74:75], v[46:47], v[64:65], v[74:75]
	;; [unrolled: 2-line block ×4, first 2 shown]
	ds_load_b128 v[40:43], v182
	ds_load_b128 v[44:47], v182 offset:1792
	ds_load_b128 v[48:51], v182 offset:3584
	ds_load_b128 v[52:55], v182 offset:5376
	s_waitcnt lgkmcnt(0)
	s_barrier
	buffer_gl0_inv
	v_add_f64 v[68:69], v[40:41], -v[68:69]
	v_add_f64 v[70:71], v[42:43], -v[70:71]
	;; [unrolled: 1-line block ×8, first 2 shown]
	v_fma_f64 v[40:41], v[40:41], 2.0, -v[68:69]
	v_fma_f64 v[42:43], v[42:43], 2.0, -v[70:71]
	;; [unrolled: 1-line block ×8, first 2 shown]
	ds_store_b128 v204, v[40:43]
	ds_store_b128 v204, v[68:71] offset:128
	ds_store_b128 v201, v[44:47]
	ds_store_b128 v201, v[72:75] offset:128
	;; [unrolled: 2-line block ×4, first 2 shown]
	s_waitcnt lgkmcnt(0)
	s_barrier
	buffer_gl0_inv
	global_load_b128 v[68:71], v89, s[10:11] offset:224
	ds_load_b128 v[40:43], v182 offset:7168
	ds_load_b128 v[44:47], v182 offset:8960
	ds_load_b128 v[48:51], v182 offset:10752
	ds_load_b128 v[52:55], v182 offset:12544
	v_and_or_b32 v89, 0xe0, v39, v88
	v_and_or_b32 v88, 0x3e0, v36, v88
	;; [unrolled: 1-line block ×3, first 2 shown]
	s_delay_alu instid0(VALU_DEP_3) | instskip(SKIP_1) | instid1(VALU_DEP_4)
	v_lshlrev_b32_e32 v206, 4, v89
	v_lshlrev_b32_e32 v89, 4, v97
	;; [unrolled: 1-line block ×5, first 2 shown]
	s_waitcnt vmcnt(0) lgkmcnt(3)
	v_mul_f64 v[72:73], v[42:43], v[70:71]
	v_mul_f64 v[74:75], v[40:41], v[70:71]
	s_waitcnt lgkmcnt(2)
	v_mul_f64 v[76:77], v[46:47], v[70:71]
	v_mul_f64 v[78:79], v[44:45], v[70:71]
	s_waitcnt lgkmcnt(1)
	;; [unrolled: 3-line block ×3, first 2 shown]
	v_mul_f64 v[84:85], v[54:55], v[70:71]
	v_mul_f64 v[86:87], v[52:53], v[70:71]
	v_fma_f64 v[72:73], v[40:41], v[68:69], -v[72:73]
	v_fma_f64 v[74:75], v[42:43], v[68:69], v[74:75]
	v_fma_f64 v[76:77], v[44:45], v[68:69], -v[76:77]
	v_fma_f64 v[78:79], v[46:47], v[68:69], v[78:79]
	;; [unrolled: 2-line block ×4, first 2 shown]
	ds_load_b128 v[40:43], v182
	ds_load_b128 v[44:47], v182 offset:1792
	ds_load_b128 v[48:51], v182 offset:3584
	;; [unrolled: 1-line block ×3, first 2 shown]
	s_waitcnt lgkmcnt(0)
	s_barrier
	buffer_gl0_inv
	v_add_f64 v[72:73], v[40:41], -v[72:73]
	v_add_f64 v[74:75], v[42:43], -v[74:75]
	;; [unrolled: 1-line block ×8, first 2 shown]
	v_fma_f64 v[40:41], v[40:41], 2.0, -v[72:73]
	v_fma_f64 v[42:43], v[42:43], 2.0, -v[74:75]
	;; [unrolled: 1-line block ×8, first 2 shown]
	ds_store_b128 v206, v[40:43]
	ds_store_b128 v206, v[72:75] offset:256
	ds_store_b128 v205, v[44:47]
	ds_store_b128 v205, v[76:79] offset:256
	;; [unrolled: 2-line block ×4, first 2 shown]
	s_waitcnt lgkmcnt(0)
	s_barrier
	buffer_gl0_inv
	s_clause 0x2
	global_load_b128 v[76:79], v90, s[10:11] offset:480
	global_load_b128 v[72:75], v89, s[10:11] offset:480
	global_load_b64 v[179:180], v89, s[10:11] offset:488
	v_lshlrev_b32_e32 v40, 4, v98
	v_lshlrev_b32_e32 v98, 4, v126
	global_load_b64 v[177:178], v40, s[10:11] offset:480
	ds_load_b128 v[40:43], v182 offset:7168
	ds_load_b128 v[44:47], v182 offset:8960
	ds_load_b128 v[48:51], v182 offset:10752
	ds_load_b128 v[52:55], v182 offset:12544
	s_waitcnt vmcnt(3) lgkmcnt(3)
	v_mul_f64 v[80:81], v[42:43], v[78:79]
	v_mul_f64 v[82:83], v[40:41], v[78:79]
	s_waitcnt vmcnt(2) lgkmcnt(2)
	v_mul_f64 v[84:85], v[46:47], v[74:75]
	v_mul_f64 v[86:87], v[44:45], v[74:75]
	s_waitcnt lgkmcnt(1)
	v_mul_f64 v[88:89], v[50:51], v[78:79]
	v_mul_f64 v[90:91], v[48:49], v[78:79]
	s_waitcnt vmcnt(1) lgkmcnt(0)
	v_mul_f64 v[92:93], v[54:55], v[179:180]
	v_mul_f64 v[94:95], v[52:53], v[179:180]
	v_fma_f64 v[80:81], v[40:41], v[76:77], -v[80:81]
	v_fma_f64 v[82:83], v[42:43], v[76:77], v[82:83]
	s_waitcnt vmcnt(0)
	v_fma_f64 v[84:85], v[44:45], v[177:178], -v[84:85]
	v_fma_f64 v[86:87], v[46:47], v[177:178], v[86:87]
	v_fma_f64 v[88:89], v[48:49], v[76:77], -v[88:89]
	v_fma_f64 v[90:91], v[50:51], v[76:77], v[90:91]
	;; [unrolled: 2-line block ×3, first 2 shown]
	ds_load_b128 v[40:43], v182
	ds_load_b128 v[44:47], v182 offset:1792
	ds_load_b128 v[48:51], v182 offset:3584
	;; [unrolled: 1-line block ×3, first 2 shown]
	s_waitcnt lgkmcnt(0)
	s_barrier
	buffer_gl0_inv
	v_add_f64 v[80:81], v[40:41], -v[80:81]
	v_add_f64 v[82:83], v[42:43], -v[82:83]
	;; [unrolled: 1-line block ×8, first 2 shown]
	v_fma_f64 v[40:41], v[40:41], 2.0, -v[80:81]
	v_fma_f64 v[42:43], v[42:43], 2.0, -v[82:83]
	;; [unrolled: 1-line block ×8, first 2 shown]
	ds_store_b128 v210, v[40:43]
	ds_store_b128 v210, v[80:83] offset:512
	ds_store_b128 v209, v[44:47]
	ds_store_b128 v209, v[84:87] offset:512
	;; [unrolled: 2-line block ×4, first 2 shown]
	s_waitcnt lgkmcnt(0)
	s_barrier
	buffer_gl0_inv
	s_clause 0x3
	global_load_b128 v[92:95], v100, s[10:11] offset:992
	global_load_b128 v[88:91], v97, s[10:11] offset:992
	;; [unrolled: 1-line block ×4, first 2 shown]
	ds_load_b128 v[40:43], v182 offset:7168
	ds_load_b128 v[44:47], v182 offset:8960
	;; [unrolled: 1-line block ×4, first 2 shown]
	s_waitcnt vmcnt(2) lgkmcnt(2)
	v_mul_f64 v[98:99], v[46:47], v[90:91]
	v_mul_f64 v[34:35], v[42:43], v[94:95]
	;; [unrolled: 1-line block ×4, first 2 shown]
	s_waitcnt vmcnt(1) lgkmcnt(1)
	v_mul_f64 v[102:103], v[50:51], v[86:87]
	v_mul_f64 v[104:105], v[48:49], v[86:87]
	s_waitcnt vmcnt(0) lgkmcnt(0)
	v_mul_f64 v[106:107], v[54:55], v[82:83]
	v_mul_f64 v[108:109], v[52:53], v[82:83]
	v_fma_f64 v[112:113], v[44:45], v[88:89], -v[98:99]
	v_fma_f64 v[34:35], v[40:41], v[92:93], -v[34:35]
	v_fma_f64 v[110:111], v[42:43], v[92:93], v[96:97]
	v_fma_f64 v[114:115], v[46:47], v[88:89], v[100:101]
	v_fma_f64 v[116:117], v[48:49], v[84:85], -v[102:103]
	v_fma_f64 v[118:119], v[50:51], v[84:85], v[104:105]
	v_fma_f64 v[120:121], v[52:53], v[80:81], -v[106:107]
	v_fma_f64 v[108:109], v[54:55], v[80:81], v[108:109]
	ds_load_b128 v[40:43], v182
	ds_load_b128 v[44:47], v182 offset:1792
	ds_load_b128 v[48:51], v182 offset:3584
	;; [unrolled: 1-line block ×3, first 2 shown]
	s_waitcnt lgkmcnt(0)
	s_barrier
	buffer_gl0_inv
	v_add_f64 v[100:101], v[44:45], -v[112:113]
	v_add_f64 v[96:97], v[40:41], -v[34:35]
	v_add_f64 v[98:99], v[42:43], -v[110:111]
	v_add_f64 v[102:103], v[46:47], -v[114:115]
	v_add_f64 v[104:105], v[48:49], -v[116:117]
	v_add_f64 v[106:107], v[50:51], -v[118:119]
	v_add_f64 v[120:121], v[52:53], -v[120:121]
	v_add_f64 v[122:123], v[54:55], -v[108:109]
	v_and_or_b32 v34, 0x80, v39, v124
	v_and_or_b32 v35, 0x180, v38, v125
	s_delay_alu instid0(VALU_DEP_2) | instskip(NEXT) | instid1(VALU_DEP_2)
	v_lshlrev_b32_e32 v197, 4, v34
	v_lshlrev_b32_e32 v192, 4, v35
	v_fma_f64 v[44:45], v[44:45], 2.0, -v[100:101]
	v_fma_f64 v[40:41], v[40:41], 2.0, -v[96:97]
	;; [unrolled: 1-line block ×8, first 2 shown]
	ds_store_b128 v197, v[40:43]
	ds_store_b128 v197, v[96:99] offset:1024
	ds_store_b128 v192, v[44:47]
	ds_store_b128 v192, v[100:103] offset:1024
	;; [unrolled: 2-line block ×4, first 2 shown]
	s_waitcnt lgkmcnt(0)
	s_barrier
	buffer_gl0_inv
	ds_load_b128 v[124:127], v182
	ds_load_b128 v[144:147], v182 offset:2048
	ds_load_b128 v[140:143], v182 offset:4096
	;; [unrolled: 1-line block ×6, first 2 shown]
	s_and_saveexec_b32 s0, vcc_lo
	s_cbranch_execz .LBB0_3
; %bb.2:
	ds_load_b128 v[120:123], v182 offset:1792
	ds_load_b128 v[152:155], v182 offset:3840
	;; [unrolled: 1-line block ×7, first 2 shown]
.LBB0_3:
	s_or_b32 exec_lo, exec_lo, s0
	v_mad_u64_u32 v[44:45], null, 0x60, v181, s[10:11]
	v_and_b32_e32 v32, 0x7f, v33
	s_mov_b32 s0, 0x37e14327
	s_mov_b32 s12, 0xe976ee23
	s_mov_b32 s14, 0x429ad128
	s_mov_b32 s1, 0x3fe948f6
	v_mad_u64_u32 v[46:47], null, 0x60, v32, s[10:11]
	s_clause 0x1
	global_load_b128 v[108:111], v[44:45], off offset:2016
	global_load_b128 v[100:103], v[44:45], off offset:2032
	s_mov_b32 s10, 0x36b3c0b5
	s_clause 0x9
	global_load_b128 v[104:107], v[44:45], off offset:2096
	global_load_b128 v[96:99], v[44:45], off offset:2080
	;; [unrolled: 1-line block ×10, first 2 shown]
	s_mov_b32 s11, 0x3fac98ee
	s_mov_b32 s13, 0xbfe11646
	s_mov_b32 s15, 0x3febfeb5
	s_mov_b32 s16, 0xaaaaaaaa
	s_mov_b32 s18, 0xb247c609
	s_mov_b32 s17, 0xbff2aaaa
	s_mov_b32 s19, 0x3fd5d0dc
	s_mov_b32 s21, 0xbfd5d0dc
	s_mov_b32 s20, s18
	s_waitcnt vmcnt(9) lgkmcnt(0)
	v_mul_f64 v[219:220], v[150:151], v[106:107]
	v_mul_f64 v[221:222], v[148:149], v[106:107]
	s_waitcnt vmcnt(8)
	v_mul_f64 v[223:224], v[138:139], v[98:99]
	v_mul_f64 v[225:226], v[136:137], v[98:99]
	;; [unrolled: 1-line block ×6, first 2 shown]
	s_waitcnt vmcnt(7)
	v_mul_f64 v[227:228], v[154:155], v[38:39]
	v_mul_f64 v[229:230], v[152:153], v[38:39]
	s_waitcnt vmcnt(6)
	v_mul_f64 v[231:232], v[162:163], v[34:35]
	v_mul_f64 v[233:234], v[160:161], v[34:35]
	;; [unrolled: 3-line block ×6, first 2 shown]
	v_fma_f64 v[148:149], v[148:149], v[104:105], -v[219:220]
	v_fma_f64 v[150:151], v[150:151], v[104:105], v[221:222]
	v_fma_f64 v[136:137], v[136:137], v[96:97], -v[223:224]
	v_fma_f64 v[138:139], v[138:139], v[96:97], v[225:226]
	;; [unrolled: 2-line block ×4, first 2 shown]
	s_waitcnt vmcnt(1)
	v_mul_f64 v[211:212], v[158:159], v[50:51]
	v_mul_f64 v[213:214], v[156:157], v[50:51]
	s_waitcnt vmcnt(0)
	v_mul_f64 v[215:216], v[166:167], v[46:47]
	v_mul_f64 v[217:218], v[164:165], v[46:47]
	v_fma_f64 v[152:153], v[152:153], v[36:37], -v[227:228]
	v_fma_f64 v[154:155], v[154:155], v[36:37], v[229:230]
	v_fma_f64 v[160:161], v[160:161], v[32:33], -v[231:232]
	v_fma_f64 v[162:163], v[162:163], v[32:33], v[233:234]
	;; [unrolled: 2-line block ×6, first 2 shown]
	v_add_f64 v[219:220], v[144:145], v[148:149]
	v_add_f64 v[221:222], v[146:147], v[150:151]
	;; [unrolled: 1-line block ×4, first 2 shown]
	v_fma_f64 v[156:157], v[156:157], v[48:49], -v[211:212]
	v_fma_f64 v[158:159], v[158:159], v[48:49], v[213:214]
	v_fma_f64 v[164:165], v[164:165], v[44:45], -v[215:216]
	v_fma_f64 v[166:167], v[166:167], v[44:45], v[217:218]
	v_add_f64 v[136:137], v[140:141], -v[136:137]
	v_add_f64 v[138:139], v[142:143], -v[138:139]
	v_add_f64 v[211:212], v[152:153], v[172:173]
	v_add_f64 v[213:214], v[154:155], v[174:175]
	;; [unrolled: 1-line block ×4, first 2 shown]
	v_add_f64 v[152:153], v[152:153], -v[172:173]
	v_add_f64 v[154:155], v[154:155], -v[174:175]
	v_add_f64 v[227:228], v[132:133], v[128:129]
	v_add_f64 v[229:230], v[134:135], v[130:131]
	v_add_f64 v[128:129], v[128:129], -v[132:133]
	v_add_f64 v[130:131], v[130:131], -v[134:135]
	;; [unrolled: 1-line block ×6, first 2 shown]
	v_add_f64 v[140:141], v[223:224], v[219:220]
	v_add_f64 v[142:143], v[225:226], v[221:222]
	;; [unrolled: 1-line block ×4, first 2 shown]
	v_add_f64 v[156:157], v[164:165], -v[156:157]
	v_add_f64 v[158:159], v[166:167], -v[158:159]
	v_add_f64 v[160:161], v[215:216], v[211:212]
	v_add_f64 v[162:163], v[217:218], v[213:214]
	v_add_f64 v[164:165], v[219:220], -v[227:228]
	v_add_f64 v[166:167], v[221:222], -v[229:230]
	;; [unrolled: 1-line block ×12, first 2 shown]
	v_add_f64 v[136:137], v[128:129], v[136:137]
	v_add_f64 v[138:139], v[130:131], v[138:139]
	v_add_f64 v[128:129], v[132:133], -v[128:129]
	v_add_f64 v[130:131], v[134:135], -v[130:131]
	v_add_f64 v[140:141], v[227:228], v[140:141]
	v_add_f64 v[142:143], v[229:230], v[142:143]
	v_add_f64 v[227:228], v[211:212], -v[148:149]
	v_add_f64 v[229:230], v[213:214], -v[150:151]
	;; [unrolled: 1-line block ×6, first 2 shown]
	v_add_f64 v[223:224], v[156:157], v[144:145]
	v_add_f64 v[225:226], v[158:159], v[146:147]
	;; [unrolled: 1-line block ×4, first 2 shown]
	v_mul_f64 v[164:165], v[164:165], s[0:1]
	v_mul_f64 v[166:167], v[166:167], s[0:1]
	;; [unrolled: 1-line block ×8, first 2 shown]
	v_add_f64 v[132:133], v[136:137], v[132:133]
	v_add_f64 v[134:135], v[138:139], v[134:135]
	;; [unrolled: 1-line block ×4, first 2 shown]
	v_add_f64 v[124:125], v[152:153], -v[156:157]
	v_add_f64 v[126:127], v[154:155], -v[158:159]
	v_mul_f64 v[156:157], v[227:228], s[0:1]
	v_mul_f64 v[158:159], v[229:230], s[0:1]
	;; [unrolled: 1-line block ×6, first 2 shown]
	s_mov_b32 s0, 0x5476071b
	s_mov_b32 s1, 0x3fe77f67
	v_add_f64 v[144:145], v[120:121], v[160:161]
	v_add_f64 v[146:147], v[122:123], v[162:163]
	v_add_f64 v[120:121], v[215:216], -v[211:212]
	v_add_f64 v[122:123], v[217:218], -v[213:214]
	v_mul_f64 v[211:212], v[243:244], s[10:11]
	v_mul_f64 v[213:214], v[245:246], s[10:11]
	s_mov_b32 s13, 0xbfe77f67
	s_mov_b32 s12, s0
	v_add_f64 v[136:137], v[223:224], v[152:153]
	v_add_f64 v[138:139], v[225:226], v[154:155]
	v_fma_f64 v[152:153], v[168:169], s[10:11], v[164:165]
	v_fma_f64 v[154:155], v[170:171], s[10:11], v[166:167]
	v_fma_f64 v[168:169], v[219:220], s[0:1], -v[247:248]
	v_fma_f64 v[170:171], v[221:222], s[0:1], -v[249:250]
	v_fma_f64 v[215:216], v[128:129], s[18:19], v[172:173]
	v_fma_f64 v[217:218], v[130:131], s[18:19], v[174:175]
	v_fma_f64 v[172:173], v[231:232], s[14:15], -v[172:173]
	v_fma_f64 v[174:175], v[233:234], s[14:15], -v[174:175]
	;; [unrolled: 1-line block ×6, first 2 shown]
	v_fma_f64 v[140:141], v[140:141], s[16:17], v[148:149]
	v_fma_f64 v[142:143], v[142:143], s[16:17], v[150:151]
	;; [unrolled: 1-line block ×6, first 2 shown]
	v_fma_f64 v[227:228], v[239:240], s[14:15], -v[227:228]
	v_fma_f64 v[229:230], v[241:242], s[14:15], -v[229:230]
	;; [unrolled: 1-line block ×4, first 2 shown]
	v_fma_f64 v[160:161], v[160:161], s[16:17], v[144:145]
	v_fma_f64 v[162:163], v[162:163], s[16:17], v[146:147]
	v_fma_f64 v[156:157], v[120:121], s[12:13], -v[156:157]
	v_fma_f64 v[158:159], v[122:123], s[12:13], -v[158:159]
	;; [unrolled: 1-line block ×4, first 2 shown]
	s_mov_b32 s0, 0x37c3f68c
	s_mov_b32 s1, 0x3fdc38aa
	s_delay_alu instid0(SALU_CYCLE_1)
	v_fma_f64 v[211:212], v[132:133], s[0:1], v[215:216]
	v_fma_f64 v[213:214], v[134:135], s[0:1], v[217:218]
	;; [unrolled: 1-line block ×6, first 2 shown]
	v_add_f64 v[132:133], v[152:153], v[140:141]
	v_add_f64 v[134:135], v[154:155], v[142:143]
	;; [unrolled: 1-line block ×6, first 2 shown]
	v_fma_f64 v[223:224], v[136:137], s[0:1], v[223:224]
	v_fma_f64 v[225:226], v[138:139], s[0:1], v[225:226]
	;; [unrolled: 1-line block ×6, first 2 shown]
	v_add_f64 v[219:220], v[219:220], v[160:161]
	v_add_f64 v[221:222], v[221:222], v[162:163]
	v_add_f64 v[138:139], v[156:157], v[160:161]
	v_add_f64 v[233:234], v[158:159], v[162:163]
	v_add_f64 v[235:236], v[120:121], v[160:161]
	v_add_f64 v[237:238], v[122:123], v[162:163]
	v_add_f64 v[152:153], v[213:214], v[132:133]
	v_add_f64 v[154:155], v[134:135], -v[211:212]
	v_add_f64 v[156:157], v[130:131], v[215:216]
	v_add_f64 v[158:159], v[217:218], -v[128:129]
	v_add_f64 v[160:161], v[140:141], -v[174:175]
	v_add_f64 v[162:163], v[172:173], v[142:143]
	v_add_f64 v[164:165], v[174:175], v[140:141]
	v_add_f64 v[166:167], v[142:143], -v[172:173]
	v_add_f64 v[168:169], v[215:216], -v[130:131]
	v_add_f64 v[170:171], v[128:129], v[217:218]
	v_add_f64 v[172:173], v[132:133], -v[213:214]
	v_add_f64 v[174:175], v[211:212], v[134:135]
	v_add_f64 v[120:121], v[225:226], v[219:220]
	v_add_f64 v[122:123], v[221:222], -v[223:224]
	v_add_f64 v[124:125], v[136:137], v[138:139]
	v_add_f64 v[126:127], v[233:234], -v[231:232]
	v_add_f64 v[128:129], v[235:236], -v[229:230]
	v_add_f64 v[130:131], v[227:228], v[237:238]
	v_add_f64 v[132:133], v[229:230], v[235:236]
	v_add_f64 v[134:135], v[237:238], -v[227:228]
	v_add_f64 v[136:137], v[138:139], -v[136:137]
	v_add_f64 v[138:139], v[231:232], v[233:234]
	v_add_f64 v[140:141], v[219:220], -v[225:226]
	v_add_f64 v[142:143], v[223:224], v[221:222]
	ds_store_b128 v182, v[148:151]
	ds_store_b128 v182, v[152:155] offset:2048
	ds_store_b128 v182, v[156:159] offset:4096
	;; [unrolled: 1-line block ×6, first 2 shown]
	s_and_saveexec_b32 s0, vcc_lo
	s_cbranch_execz .LBB0_5
; %bb.4:
	ds_store_b128 v182, v[144:147] offset:1792
	ds_store_b128 v182, v[120:123] offset:3840
	;; [unrolled: 1-line block ×7, first 2 shown]
.LBB0_5:
	s_or_b32 exec_lo, exec_lo, s0
	v_lshlrev_b32_e32 v144, 4, v181
	s_waitcnt lgkmcnt(0)
	s_barrier
	buffer_gl0_inv
	v_add_co_u32 v219, s0, s8, v144
	s_delay_alu instid0(VALU_DEP_1) | instskip(NEXT) | instid1(VALU_DEP_2)
	v_add_co_ci_u32_e64 v220, null, s9, 0, s0
	v_add_co_u32 v144, s0, 0x3000, v219
	s_delay_alu instid0(VALU_DEP_1) | instskip(SKIP_1) | instid1(VALU_DEP_1)
	v_add_co_ci_u32_e64 v145, s0, 0, v220, s0
	v_add_co_u32 v168, s0, 0x5000, v219
	v_add_co_ci_u32_e64 v169, s0, 0, v220, s0
	s_clause 0x1
	global_load_b128 v[144:147], v[144:145], off offset:2048
	global_load_b128 v[148:151], v[168:169], off offset:1024
	ds_load_b128 v[152:155], v182
	ds_load_b128 v[156:159], v182 offset:1792
	s_waitcnt vmcnt(1) lgkmcnt(1)
	v_mul_f64 v[160:161], v[154:155], v[146:147]
	v_mul_f64 v[146:147], v[152:153], v[146:147]
	s_delay_alu instid0(VALU_DEP_2) | instskip(NEXT) | instid1(VALU_DEP_2)
	v_fma_f64 v[152:153], v[152:153], v[144:145], -v[160:161]
	v_fma_f64 v[154:155], v[154:155], v[144:145], v[146:147]
	ds_load_b128 v[144:147], v182 offset:7168
	ds_load_b128 v[160:163], v182 offset:8960
	s_waitcnt vmcnt(0) lgkmcnt(1)
	v_mul_f64 v[164:165], v[146:147], v[150:151]
	v_mul_f64 v[150:151], v[144:145], v[150:151]
	s_delay_alu instid0(VALU_DEP_2) | instskip(SKIP_1) | instid1(VALU_DEP_1)
	v_fma_f64 v[144:145], v[144:145], v[148:149], -v[164:165]
	v_add_co_u32 v164, s0, 0x3800, v219
	v_add_co_ci_u32_e64 v165, s0, 0, v220, s0
	s_delay_alu instid0(VALU_DEP_4) | instskip(SKIP_4) | instid1(VALU_DEP_1)
	v_fma_f64 v[146:147], v[146:147], v[148:149], v[150:151]
	s_clause 0x1
	global_load_b128 v[148:151], v[164:165], off offset:1792
	global_load_b128 v[164:167], v[164:165], off offset:3584
	v_add_co_u32 v215, s0, 0x6000, v219
	v_add_co_ci_u32_e64 v216, s0, 0, v220, s0
	s_waitcnt vmcnt(1)
	v_mul_f64 v[170:171], v[158:159], v[150:151]
	v_mul_f64 v[150:151], v[156:157], v[150:151]
	s_delay_alu instid0(VALU_DEP_2) | instskip(NEXT) | instid1(VALU_DEP_2)
	v_fma_f64 v[156:157], v[156:157], v[148:149], -v[170:171]
	v_fma_f64 v[158:159], v[158:159], v[148:149], v[150:151]
	s_clause 0x1
	global_load_b128 v[148:151], v[168:169], off offset:2816
	global_load_b128 v[168:171], v[215:216], off offset:512
	s_waitcnt vmcnt(1) lgkmcnt(0)
	v_mul_f64 v[172:173], v[162:163], v[150:151]
	v_mul_f64 v[150:151], v[160:161], v[150:151]
	s_delay_alu instid0(VALU_DEP_2) | instskip(NEXT) | instid1(VALU_DEP_2)
	v_fma_f64 v[160:161], v[160:161], v[148:149], -v[172:173]
	v_fma_f64 v[162:163], v[162:163], v[148:149], v[150:151]
	ds_load_b128 v[148:151], v182 offset:3584
	ds_load_b128 v[172:175], v182 offset:5376
	s_waitcnt lgkmcnt(1)
	v_mul_f64 v[211:212], v[150:151], v[166:167]
	v_mul_f64 v[166:167], v[148:149], v[166:167]
	s_delay_alu instid0(VALU_DEP_2) | instskip(NEXT) | instid1(VALU_DEP_2)
	v_fma_f64 v[148:149], v[148:149], v[164:165], -v[211:212]
	v_fma_f64 v[150:151], v[150:151], v[164:165], v[166:167]
	ds_load_b128 v[164:167], v182 offset:10752
	ds_load_b128 v[211:214], v182 offset:12544
	s_waitcnt vmcnt(0) lgkmcnt(1)
	v_mul_f64 v[217:218], v[166:167], v[170:171]
	v_mul_f64 v[170:171], v[164:165], v[170:171]
	s_delay_alu instid0(VALU_DEP_2) | instskip(NEXT) | instid1(VALU_DEP_2)
	v_fma_f64 v[164:165], v[164:165], v[168:169], -v[217:218]
	v_fma_f64 v[166:167], v[166:167], v[168:169], v[170:171]
	v_add_co_u32 v168, s0, 0x4000, v219
	s_delay_alu instid0(VALU_DEP_1)
	v_add_co_ci_u32_e64 v169, s0, 0, v220, s0
	s_clause 0x1
	global_load_b128 v[168:171], v[168:169], off offset:3328
	global_load_b128 v[215:218], v[215:216], off offset:2304
	s_waitcnt vmcnt(1)
	v_mul_f64 v[219:220], v[174:175], v[170:171]
	v_mul_f64 v[221:222], v[172:173], v[170:171]
	s_delay_alu instid0(VALU_DEP_2) | instskip(NEXT) | instid1(VALU_DEP_2)
	v_fma_f64 v[170:171], v[172:173], v[168:169], -v[219:220]
	v_fma_f64 v[172:173], v[174:175], v[168:169], v[221:222]
	s_waitcnt vmcnt(0) lgkmcnt(0)
	v_mul_f64 v[168:169], v[213:214], v[217:218]
	v_mul_f64 v[174:175], v[211:212], v[217:218]
	s_delay_alu instid0(VALU_DEP_2) | instskip(NEXT) | instid1(VALU_DEP_2)
	v_fma_f64 v[211:212], v[211:212], v[215:216], -v[168:169]
	v_fma_f64 v[213:214], v[213:214], v[215:216], v[174:175]
	ds_store_b128 v182, v[152:155]
	ds_store_b128 v182, v[156:159] offset:1792
	ds_store_b128 v182, v[144:147] offset:7168
	;; [unrolled: 1-line block ×7, first 2 shown]
	s_waitcnt lgkmcnt(0)
	s_barrier
	buffer_gl0_inv
	ds_load_b128 v[144:147], v182 offset:7168
	ds_load_b128 v[148:151], v182
	ds_load_b128 v[152:155], v182 offset:1792
	ds_load_b128 v[156:159], v182 offset:8960
	;; [unrolled: 1-line block ×6, first 2 shown]
	s_waitcnt lgkmcnt(0)
	s_barrier
	buffer_gl0_inv
	v_add_f64 v[144:145], v[148:149], -v[144:145]
	v_add_f64 v[146:147], v[150:151], -v[146:147]
	s_delay_alu instid0(VALU_DEP_2) | instskip(NEXT) | instid1(VALU_DEP_2)
	v_fma_f64 v[148:149], v[148:149], 2.0, -v[144:145]
	v_fma_f64 v[150:151], v[150:151], 2.0, -v[146:147]
	ds_store_b128 v195, v[144:147] offset:16
	ds_store_b128 v195, v[148:151]
	v_add_f64 v[144:145], v[152:153], -v[156:157]
	v_add_f64 v[146:147], v[154:155], -v[158:159]
	s_delay_alu instid0(VALU_DEP_2) | instskip(NEXT) | instid1(VALU_DEP_2)
	v_fma_f64 v[148:149], v[152:153], 2.0, -v[144:145]
	v_fma_f64 v[150:151], v[154:155], 2.0, -v[146:147]
	ds_store_b128 v190, v[148:151]
	ds_store_b128 v190, v[144:147] offset:16
	v_add_f64 v[144:145], v[160:161], -v[168:169]
	v_add_f64 v[146:147], v[162:163], -v[170:171]
	s_delay_alu instid0(VALU_DEP_2) | instskip(NEXT) | instid1(VALU_DEP_2)
	v_fma_f64 v[148:149], v[160:161], 2.0, -v[144:145]
	v_fma_f64 v[150:151], v[162:163], 2.0, -v[146:147]
	ds_store_b128 v185, v[148:151]
	ds_store_b128 v185, v[144:147] offset:16
	;; [unrolled: 7-line block ×3, first 2 shown]
	s_waitcnt lgkmcnt(0)
	s_barrier
	buffer_gl0_inv
	ds_load_b128 v[144:147], v182 offset:7168
	ds_load_b128 v[148:151], v182 offset:8960
	s_waitcnt lgkmcnt(1)
	v_mul_f64 v[152:153], v[58:59], v[146:147]
	s_delay_alu instid0(VALU_DEP_1) | instskip(SKIP_1) | instid1(VALU_DEP_1)
	v_fma_f64 v[152:153], v[56:57], v[144:145], v[152:153]
	v_mul_f64 v[144:145], v[58:59], v[144:145]
	v_fma_f64 v[154:155], v[56:57], v[146:147], -v[144:145]
	s_waitcnt lgkmcnt(0)
	v_mul_f64 v[144:145], v[58:59], v[150:151]
	s_delay_alu instid0(VALU_DEP_1) | instskip(SKIP_1) | instid1(VALU_DEP_1)
	v_fma_f64 v[160:161], v[56:57], v[148:149], v[144:145]
	v_mul_f64 v[144:145], v[58:59], v[148:149]
	v_fma_f64 v[162:163], v[56:57], v[150:151], -v[144:145]
	ds_load_b128 v[144:147], v182 offset:10752
	ds_load_b128 v[148:151], v182 offset:12544
	s_waitcnt lgkmcnt(1)
	v_mul_f64 v[156:157], v[58:59], v[146:147]
	s_delay_alu instid0(VALU_DEP_1) | instskip(SKIP_1) | instid1(VALU_DEP_1)
	v_fma_f64 v[164:165], v[56:57], v[144:145], v[156:157]
	v_mul_f64 v[144:145], v[58:59], v[144:145]
	v_fma_f64 v[166:167], v[56:57], v[146:147], -v[144:145]
	s_waitcnt lgkmcnt(0)
	v_mul_f64 v[144:145], v[58:59], v[150:151]
	v_mul_f64 v[58:59], v[58:59], v[148:149]
	s_delay_alu instid0(VALU_DEP_2) | instskip(NEXT) | instid1(VALU_DEP_2)
	v_fma_f64 v[168:169], v[56:57], v[148:149], v[144:145]
	v_fma_f64 v[170:171], v[56:57], v[150:151], -v[58:59]
	ds_load_b128 v[56:59], v182
	ds_load_b128 v[144:147], v182 offset:1792
	s_waitcnt lgkmcnt(1)
	v_add_f64 v[148:149], v[56:57], -v[152:153]
	v_add_f64 v[150:151], v[58:59], -v[154:155]
	ds_load_b128 v[152:155], v182 offset:3584
	ds_load_b128 v[156:159], v182 offset:5376
	s_waitcnt lgkmcnt(0)
	s_barrier
	buffer_gl0_inv
	v_fma_f64 v[56:57], v[56:57], 2.0, -v[148:149]
	v_fma_f64 v[58:59], v[58:59], 2.0, -v[150:151]
	ds_store_b128 v199, v[148:151] offset:32
	ds_store_b128 v199, v[56:59]
	v_add_f64 v[56:57], v[144:145], -v[160:161]
	v_add_f64 v[58:59], v[146:147], -v[162:163]
	s_delay_alu instid0(VALU_DEP_2) | instskip(NEXT) | instid1(VALU_DEP_2)
	v_fma_f64 v[144:145], v[144:145], 2.0, -v[56:57]
	v_fma_f64 v[146:147], v[146:147], 2.0, -v[58:59]
	ds_store_b128 v194, v[144:147]
	ds_store_b128 v194, v[56:59] offset:32
	v_add_f64 v[56:57], v[152:153], -v[164:165]
	v_add_f64 v[58:59], v[154:155], -v[166:167]
	s_delay_alu instid0(VALU_DEP_2) | instskip(NEXT) | instid1(VALU_DEP_2)
	v_fma_f64 v[144:145], v[152:153], 2.0, -v[56:57]
	v_fma_f64 v[146:147], v[154:155], 2.0, -v[58:59]
	ds_store_b128 v189, v[144:147]
	ds_store_b128 v189, v[56:59] offset:32
	;; [unrolled: 7-line block ×3, first 2 shown]
	s_waitcnt lgkmcnt(0)
	s_barrier
	buffer_gl0_inv
	ds_load_b128 v[56:59], v182 offset:7168
	ds_load_b128 v[144:147], v182 offset:8960
	s_waitcnt lgkmcnt(1)
	v_mul_f64 v[148:149], v[62:63], v[58:59]
	s_delay_alu instid0(VALU_DEP_1) | instskip(SKIP_1) | instid1(VALU_DEP_1)
	v_fma_f64 v[148:149], v[60:61], v[56:57], v[148:149]
	v_mul_f64 v[56:57], v[62:63], v[56:57]
	v_fma_f64 v[150:151], v[60:61], v[58:59], -v[56:57]
	s_waitcnt lgkmcnt(0)
	v_mul_f64 v[56:57], v[62:63], v[146:147]
	s_delay_alu instid0(VALU_DEP_1) | instskip(SKIP_1) | instid1(VALU_DEP_1)
	v_fma_f64 v[156:157], v[60:61], v[144:145], v[56:57]
	v_mul_f64 v[56:57], v[62:63], v[144:145]
	v_fma_f64 v[158:159], v[60:61], v[146:147], -v[56:57]
	ds_load_b128 v[56:59], v182 offset:10752
	ds_load_b128 v[144:147], v182 offset:12544
	s_waitcnt lgkmcnt(1)
	v_mul_f64 v[152:153], v[62:63], v[58:59]
	s_delay_alu instid0(VALU_DEP_1) | instskip(SKIP_1) | instid1(VALU_DEP_1)
	v_fma_f64 v[160:161], v[60:61], v[56:57], v[152:153]
	v_mul_f64 v[56:57], v[62:63], v[56:57]
	v_fma_f64 v[162:163], v[60:61], v[58:59], -v[56:57]
	s_waitcnt lgkmcnt(0)
	v_mul_f64 v[56:57], v[62:63], v[146:147]
	s_delay_alu instid0(VALU_DEP_1) | instskip(SKIP_1) | instid1(VALU_DEP_1)
	v_fma_f64 v[164:165], v[60:61], v[144:145], v[56:57]
	v_mul_f64 v[56:57], v[62:63], v[144:145]
	v_fma_f64 v[166:167], v[60:61], v[146:147], -v[56:57]
	ds_load_b128 v[56:59], v182
	ds_load_b128 v[60:63], v182 offset:1792
	s_waitcnt lgkmcnt(1)
	v_add_f64 v[144:145], v[56:57], -v[148:149]
	v_add_f64 v[146:147], v[58:59], -v[150:151]
	ds_load_b128 v[148:151], v182 offset:3584
	ds_load_b128 v[152:155], v182 offset:5376
	s_waitcnt lgkmcnt(0)
	s_barrier
	buffer_gl0_inv
	v_fma_f64 v[56:57], v[56:57], 2.0, -v[144:145]
	v_fma_f64 v[58:59], v[58:59], 2.0, -v[146:147]
	ds_store_b128 v202, v[144:147] offset:64
	ds_store_b128 v202, v[56:59]
	v_add_f64 v[56:57], v[60:61], -v[156:157]
	v_add_f64 v[58:59], v[62:63], -v[158:159]
	s_delay_alu instid0(VALU_DEP_2) | instskip(NEXT) | instid1(VALU_DEP_2)
	v_fma_f64 v[60:61], v[60:61], 2.0, -v[56:57]
	v_fma_f64 v[62:63], v[62:63], 2.0, -v[58:59]
	ds_store_b128 v198, v[60:63]
	ds_store_b128 v198, v[56:59] offset:64
	v_add_f64 v[56:57], v[148:149], -v[160:161]
	v_add_f64 v[58:59], v[150:151], -v[162:163]
	s_delay_alu instid0(VALU_DEP_2) | instskip(NEXT) | instid1(VALU_DEP_2)
	v_fma_f64 v[60:61], v[148:149], 2.0, -v[56:57]
	v_fma_f64 v[62:63], v[150:151], 2.0, -v[58:59]
	ds_store_b128 v193, v[60:63]
	ds_store_b128 v193, v[56:59] offset:64
	;; [unrolled: 7-line block ×3, first 2 shown]
	s_waitcnt lgkmcnt(0)
	s_barrier
	buffer_gl0_inv
	ds_load_b128 v[56:59], v182 offset:7168
	ds_load_b128 v[60:63], v182 offset:8960
	s_waitcnt lgkmcnt(1)
	v_mul_f64 v[144:145], v[66:67], v[58:59]
	s_delay_alu instid0(VALU_DEP_1) | instskip(SKIP_1) | instid1(VALU_DEP_1)
	v_fma_f64 v[144:145], v[64:65], v[56:57], v[144:145]
	v_mul_f64 v[56:57], v[66:67], v[56:57]
	v_fma_f64 v[146:147], v[64:65], v[58:59], -v[56:57]
	s_waitcnt lgkmcnt(0)
	v_mul_f64 v[56:57], v[66:67], v[62:63]
	s_delay_alu instid0(VALU_DEP_1) | instskip(SKIP_1) | instid1(VALU_DEP_1)
	v_fma_f64 v[152:153], v[64:65], v[60:61], v[56:57]
	v_mul_f64 v[56:57], v[66:67], v[60:61]
	v_fma_f64 v[154:155], v[64:65], v[62:63], -v[56:57]
	ds_load_b128 v[56:59], v182 offset:10752
	ds_load_b128 v[60:63], v182 offset:12544
	s_waitcnt lgkmcnt(1)
	v_mul_f64 v[148:149], v[66:67], v[58:59]
	s_delay_alu instid0(VALU_DEP_1) | instskip(SKIP_1) | instid1(VALU_DEP_1)
	v_fma_f64 v[156:157], v[64:65], v[56:57], v[148:149]
	v_mul_f64 v[56:57], v[66:67], v[56:57]
	v_fma_f64 v[158:159], v[64:65], v[58:59], -v[56:57]
	s_waitcnt lgkmcnt(0)
	v_mul_f64 v[56:57], v[66:67], v[62:63]
	s_delay_alu instid0(VALU_DEP_1) | instskip(SKIP_1) | instid1(VALU_DEP_1)
	v_fma_f64 v[160:161], v[64:65], v[60:61], v[56:57]
	v_mul_f64 v[56:57], v[66:67], v[60:61]
	v_fma_f64 v[162:163], v[64:65], v[62:63], -v[56:57]
	ds_load_b128 v[56:59], v182
	ds_load_b128 v[60:63], v182 offset:1792
	s_waitcnt lgkmcnt(1)
	v_add_f64 v[64:65], v[56:57], -v[144:145]
	v_add_f64 v[66:67], v[58:59], -v[146:147]
	ds_load_b128 v[144:147], v182 offset:3584
	ds_load_b128 v[148:151], v182 offset:5376
	s_waitcnt lgkmcnt(0)
	s_barrier
	buffer_gl0_inv
	v_fma_f64 v[56:57], v[56:57], 2.0, -v[64:65]
	v_fma_f64 v[58:59], v[58:59], 2.0, -v[66:67]
	ds_store_b128 v204, v[64:67] offset:128
	ds_store_b128 v204, v[56:59]
	v_add_f64 v[56:57], v[60:61], -v[152:153]
	v_add_f64 v[58:59], v[62:63], -v[154:155]
	s_delay_alu instid0(VALU_DEP_2) | instskip(NEXT) | instid1(VALU_DEP_2)
	v_fma_f64 v[60:61], v[60:61], 2.0, -v[56:57]
	v_fma_f64 v[62:63], v[62:63], 2.0, -v[58:59]
	ds_store_b128 v201, v[60:63]
	ds_store_b128 v201, v[56:59] offset:128
	v_add_f64 v[56:57], v[144:145], -v[156:157]
	v_add_f64 v[58:59], v[146:147], -v[158:159]
	s_delay_alu instid0(VALU_DEP_2) | instskip(NEXT) | instid1(VALU_DEP_2)
	v_fma_f64 v[60:61], v[144:145], 2.0, -v[56:57]
	v_fma_f64 v[62:63], v[146:147], 2.0, -v[58:59]
	ds_store_b128 v196, v[60:63]
	ds_store_b128 v196, v[56:59] offset:128
	;; [unrolled: 7-line block ×3, first 2 shown]
	s_waitcnt lgkmcnt(0)
	s_barrier
	buffer_gl0_inv
	ds_load_b128 v[56:59], v182 offset:7168
	ds_load_b128 v[60:63], v182 offset:8960
	s_waitcnt lgkmcnt(1)
	v_mul_f64 v[64:65], v[70:71], v[58:59]
	s_delay_alu instid0(VALU_DEP_1) | instskip(SKIP_1) | instid1(VALU_DEP_1)
	v_fma_f64 v[64:65], v[68:69], v[56:57], v[64:65]
	v_mul_f64 v[56:57], v[70:71], v[56:57]
	v_fma_f64 v[66:67], v[68:69], v[58:59], -v[56:57]
	s_waitcnt lgkmcnt(0)
	v_mul_f64 v[56:57], v[70:71], v[62:63]
	s_delay_alu instid0(VALU_DEP_1) | instskip(SKIP_1) | instid1(VALU_DEP_1)
	v_fma_f64 v[148:149], v[68:69], v[60:61], v[56:57]
	v_mul_f64 v[56:57], v[70:71], v[60:61]
	v_fma_f64 v[150:151], v[68:69], v[62:63], -v[56:57]
	ds_load_b128 v[56:59], v182 offset:10752
	ds_load_b128 v[60:63], v182 offset:12544
	s_waitcnt lgkmcnt(1)
	v_mul_f64 v[144:145], v[70:71], v[58:59]
	s_delay_alu instid0(VALU_DEP_1) | instskip(SKIP_1) | instid1(VALU_DEP_1)
	v_fma_f64 v[152:153], v[68:69], v[56:57], v[144:145]
	v_mul_f64 v[56:57], v[70:71], v[56:57]
	v_fma_f64 v[154:155], v[68:69], v[58:59], -v[56:57]
	s_waitcnt lgkmcnt(0)
	v_mul_f64 v[56:57], v[70:71], v[62:63]
	s_delay_alu instid0(VALU_DEP_1) | instskip(SKIP_1) | instid1(VALU_DEP_1)
	v_fma_f64 v[156:157], v[68:69], v[60:61], v[56:57]
	v_mul_f64 v[56:57], v[70:71], v[60:61]
	v_fma_f64 v[158:159], v[68:69], v[62:63], -v[56:57]
	ds_load_b128 v[56:59], v182
	ds_load_b128 v[60:63], v182 offset:1792
	ds_load_b128 v[68:71], v182 offset:3584
	;; [unrolled: 1-line block ×3, first 2 shown]
	s_waitcnt lgkmcnt(0)
	s_barrier
	buffer_gl0_inv
	v_add_f64 v[64:65], v[56:57], -v[64:65]
	v_add_f64 v[66:67], v[58:59], -v[66:67]
	s_delay_alu instid0(VALU_DEP_2) | instskip(NEXT) | instid1(VALU_DEP_2)
	v_fma_f64 v[56:57], v[56:57], 2.0, -v[64:65]
	v_fma_f64 v[58:59], v[58:59], 2.0, -v[66:67]
	ds_store_b128 v206, v[64:67] offset:256
	ds_store_b128 v206, v[56:59]
	v_add_f64 v[56:57], v[60:61], -v[148:149]
	v_add_f64 v[58:59], v[62:63], -v[150:151]
	s_delay_alu instid0(VALU_DEP_2) | instskip(NEXT) | instid1(VALU_DEP_2)
	v_fma_f64 v[60:61], v[60:61], 2.0, -v[56:57]
	v_fma_f64 v[62:63], v[62:63], 2.0, -v[58:59]
	ds_store_b128 v205, v[60:63]
	ds_store_b128 v205, v[56:59] offset:256
	v_add_f64 v[56:57], v[68:69], -v[152:153]
	v_add_f64 v[58:59], v[70:71], -v[154:155]
	s_delay_alu instid0(VALU_DEP_2) | instskip(NEXT) | instid1(VALU_DEP_2)
	v_fma_f64 v[60:61], v[68:69], 2.0, -v[56:57]
	v_fma_f64 v[62:63], v[70:71], 2.0, -v[58:59]
	ds_store_b128 v203, v[60:63]
	ds_store_b128 v203, v[56:59] offset:256
	;; [unrolled: 7-line block ×3, first 2 shown]
	s_waitcnt lgkmcnt(0)
	s_barrier
	buffer_gl0_inv
	ds_load_b128 v[56:59], v182 offset:7168
	ds_load_b128 v[60:63], v182 offset:8960
	s_waitcnt lgkmcnt(1)
	v_mul_f64 v[64:65], v[78:79], v[58:59]
	s_delay_alu instid0(VALU_DEP_1) | instskip(SKIP_1) | instid1(VALU_DEP_1)
	v_fma_f64 v[68:69], v[76:77], v[56:57], v[64:65]
	v_mul_f64 v[56:57], v[78:79], v[56:57]
	v_fma_f64 v[70:71], v[76:77], v[58:59], -v[56:57]
	ds_load_b128 v[56:59], v182 offset:10752
	ds_load_b128 v[64:67], v182 offset:12544
	s_waitcnt lgkmcnt(1)
	v_mul_f64 v[144:145], v[78:79], v[58:59]
	s_delay_alu instid0(VALU_DEP_1) | instskip(SKIP_1) | instid1(VALU_DEP_1)
	v_fma_f64 v[144:145], v[76:77], v[56:57], v[144:145]
	v_mul_f64 v[56:57], v[78:79], v[56:57]
	v_fma_f64 v[76:77], v[76:77], v[58:59], -v[56:57]
	s_waitcnt lgkmcnt(0)
	v_mul_f64 v[56:57], v[179:180], v[66:67]
	v_mul_f64 v[58:59], v[179:180], v[64:65]
	s_delay_alu instid0(VALU_DEP_2) | instskip(NEXT) | instid1(VALU_DEP_2)
	v_fma_f64 v[78:79], v[72:73], v[64:65], v[56:57]
	v_fma_f64 v[146:147], v[72:73], v[66:67], -v[58:59]
	v_mul_f64 v[56:57], v[74:75], v[62:63]
	v_mul_f64 v[58:59], v[74:75], v[60:61]
	s_delay_alu instid0(VALU_DEP_2) | instskip(NEXT) | instid1(VALU_DEP_2)
	v_fma_f64 v[148:149], v[177:178], v[60:61], v[56:57]
	v_fma_f64 v[150:151], v[177:178], v[62:63], -v[58:59]
	ds_load_b128 v[56:59], v182
	ds_load_b128 v[60:63], v182 offset:1792
	s_waitcnt lgkmcnt(1)
	v_add_f64 v[64:65], v[56:57], -v[68:69]
	v_add_f64 v[66:67], v[58:59], -v[70:71]
	ds_load_b128 v[68:71], v182 offset:3584
	ds_load_b128 v[72:75], v182 offset:5376
	s_waitcnt lgkmcnt(0)
	s_barrier
	buffer_gl0_inv
	v_fma_f64 v[56:57], v[56:57], 2.0, -v[64:65]
	v_fma_f64 v[58:59], v[58:59], 2.0, -v[66:67]
	ds_store_b128 v210, v[64:67] offset:512
	ds_store_b128 v210, v[56:59]
	v_add_f64 v[56:57], v[60:61], -v[148:149]
	v_add_f64 v[58:59], v[62:63], -v[150:151]
	s_delay_alu instid0(VALU_DEP_2) | instskip(NEXT) | instid1(VALU_DEP_2)
	v_fma_f64 v[60:61], v[60:61], 2.0, -v[56:57]
	v_fma_f64 v[62:63], v[62:63], 2.0, -v[58:59]
	ds_store_b128 v209, v[60:63]
	ds_store_b128 v209, v[56:59] offset:512
	v_add_f64 v[56:57], v[68:69], -v[144:145]
	v_add_f64 v[58:59], v[70:71], -v[76:77]
	;; [unrolled: 1-line block ×4, first 2 shown]
	s_delay_alu instid0(VALU_DEP_4) | instskip(NEXT) | instid1(VALU_DEP_4)
	v_fma_f64 v[64:65], v[68:69], 2.0, -v[56:57]
	v_fma_f64 v[66:67], v[70:71], 2.0, -v[58:59]
	s_delay_alu instid0(VALU_DEP_4) | instskip(NEXT) | instid1(VALU_DEP_4)
	v_fma_f64 v[68:69], v[72:73], 2.0, -v[60:61]
	v_fma_f64 v[70:71], v[74:75], 2.0, -v[62:63]
	ds_store_b128 v208, v[64:67]
	ds_store_b128 v208, v[56:59] offset:512
	ds_store_b128 v207, v[68:71]
	ds_store_b128 v207, v[60:63] offset:512
	s_waitcnt lgkmcnt(0)
	s_barrier
	buffer_gl0_inv
	ds_load_b128 v[56:59], v182 offset:7168
	ds_load_b128 v[60:63], v182 offset:8960
	s_waitcnt lgkmcnt(1)
	v_mul_f64 v[64:65], v[94:95], v[58:59]
	v_mul_f64 v[68:69], v[94:95], v[56:57]
	s_waitcnt lgkmcnt(0)
	v_mul_f64 v[70:71], v[90:91], v[62:63]
	v_mul_f64 v[72:73], v[90:91], v[60:61]
	s_delay_alu instid0(VALU_DEP_4)
	v_fma_f64 v[76:77], v[92:93], v[56:57], v[64:65]
	ds_load_b128 v[64:67], v182 offset:10752
	v_fma_f64 v[78:79], v[92:93], v[58:59], -v[68:69]
	ds_load_b128 v[56:59], v182 offset:12544
	v_fma_f64 v[90:91], v[88:89], v[60:61], v[70:71]
	v_fma_f64 v[88:89], v[88:89], v[62:63], -v[72:73]
	s_waitcnt lgkmcnt(1)
	v_mul_f64 v[68:69], v[86:87], v[66:67]
	v_mul_f64 v[74:75], v[86:87], v[64:65]
	s_waitcnt lgkmcnt(0)
	v_mul_f64 v[86:87], v[82:83], v[58:59]
	v_mul_f64 v[60:61], v[82:83], v[56:57]
	s_delay_alu instid0(VALU_DEP_4) | instskip(NEXT) | instid1(VALU_DEP_4)
	v_fma_f64 v[92:93], v[84:85], v[64:65], v[68:69]
	v_fma_f64 v[94:95], v[84:85], v[66:67], -v[74:75]
	s_delay_alu instid0(VALU_DEP_4) | instskip(NEXT) | instid1(VALU_DEP_4)
	v_fma_f64 v[56:57], v[80:81], v[56:57], v[86:87]
	v_fma_f64 v[58:59], v[80:81], v[58:59], -v[60:61]
	ds_load_b128 v[60:63], v182
	ds_load_b128 v[64:67], v182 offset:1792
	ds_load_b128 v[68:71], v182 offset:3584
	ds_load_b128 v[72:75], v182 offset:5376
	s_waitcnt lgkmcnt(0)
	s_barrier
	buffer_gl0_inv
	v_add_f64 v[76:77], v[60:61], -v[76:77]
	v_add_f64 v[78:79], v[62:63], -v[78:79]
	;; [unrolled: 1-line block ×8, first 2 shown]
	v_fma_f64 v[60:61], v[60:61], 2.0, -v[76:77]
	v_fma_f64 v[62:63], v[62:63], 2.0, -v[78:79]
	;; [unrolled: 1-line block ×8, first 2 shown]
	ds_store_b128 v197, v[76:79] offset:1024
	ds_store_b128 v197, v[60:63]
	ds_store_b128 v192, v[64:67]
	ds_store_b128 v192, v[80:83] offset:1024
	ds_store_b128 v188, v[68:71]
	ds_store_b128 v188, v[84:87] offset:1024
	;; [unrolled: 2-line block ×3, first 2 shown]
	s_waitcnt lgkmcnt(0)
	s_barrier
	buffer_gl0_inv
	ds_load_b128 v[60:63], v182
	ds_load_b128 v[80:83], v182 offset:2048
	ds_load_b128 v[76:79], v182 offset:4096
	;; [unrolled: 1-line block ×6, first 2 shown]
	s_and_saveexec_b32 s0, vcc_lo
	s_cbranch_execz .LBB0_7
; %bb.6:
	ds_load_b128 v[56:59], v182 offset:1792
	ds_load_b128 v[120:123], v182 offset:3840
	ds_load_b128 v[124:127], v182 offset:5888
	ds_load_b128 v[128:131], v182 offset:7936
	ds_load_b128 v[132:135], v182 offset:9984
	ds_load_b128 v[136:139], v182 offset:12032
	ds_load_b128 v[140:143], v182 offset:14080
.LBB0_7:
	s_or_b32 exec_lo, exec_lo, s0
	s_waitcnt lgkmcnt(5)
	v_mul_f64 v[88:89], v[110:111], v[82:83]
	v_mul_f64 v[90:91], v[110:111], v[80:81]
	s_waitcnt lgkmcnt(4)
	v_mul_f64 v[92:93], v[102:103], v[78:79]
	v_mul_f64 v[94:95], v[102:103], v[76:77]
	;; [unrolled: 3-line block ×3, first 2 shown]
	v_mul_f64 v[110:111], v[98:99], v[74:75]
	v_mul_f64 v[98:99], v[98:99], v[72:73]
	;; [unrolled: 1-line block ×6, first 2 shown]
	s_mov_b32 s8, 0x37e14327
	s_mov_b32 s12, 0xe976ee23
	;; [unrolled: 1-line block ×20, first 2 shown]
	v_fma_f64 v[80:81], v[108:109], v[80:81], v[88:89]
	v_fma_f64 v[82:83], v[108:109], v[82:83], -v[90:91]
	v_fma_f64 v[76:77], v[100:101], v[76:77], v[92:93]
	v_fma_f64 v[78:79], v[100:101], v[78:79], -v[94:95]
	;; [unrolled: 2-line block ×6, first 2 shown]
	v_add_f64 v[88:89], v[80:81], v[84:85]
	v_add_f64 v[90:91], v[82:83], v[86:87]
	;; [unrolled: 1-line block ×4, first 2 shown]
	v_add_f64 v[72:73], v[76:77], -v[72:73]
	v_add_f64 v[74:75], v[78:79], -v[74:75]
	v_add_f64 v[76:77], v[68:69], v[64:65]
	v_add_f64 v[78:79], v[70:71], v[66:67]
	v_add_f64 v[64:65], v[64:65], -v[68:69]
	v_add_f64 v[66:67], v[66:67], -v[70:71]
	;; [unrolled: 1-line block ×4, first 2 shown]
	v_add_f64 v[80:81], v[92:93], v[88:89]
	v_add_f64 v[82:83], v[94:95], v[90:91]
	v_add_f64 v[84:85], v[88:89], -v[76:77]
	v_add_f64 v[86:87], v[90:91], -v[78:79]
	;; [unrolled: 1-line block ×6, first 2 shown]
	v_add_f64 v[72:73], v[64:65], v[72:73]
	v_add_f64 v[74:75], v[66:67], v[74:75]
	v_add_f64 v[64:65], v[68:69], -v[64:65]
	v_add_f64 v[66:67], v[70:71], -v[66:67]
	;; [unrolled: 1-line block ×4, first 2 shown]
	v_add_f64 v[80:81], v[76:77], v[80:81]
	v_add_f64 v[82:83], v[78:79], v[82:83]
	v_add_f64 v[76:77], v[76:77], -v[92:93]
	v_add_f64 v[78:79], v[78:79], -v[94:95]
	v_mul_f64 v[84:85], v[84:85], s[8:9]
	v_mul_f64 v[86:87], v[86:87], s[8:9]
	v_mul_f64 v[96:97], v[96:97], s[12:13]
	v_mul_f64 v[98:99], v[98:99], s[12:13]
	v_mul_f64 v[104:105], v[100:101], s[0:1]
	v_mul_f64 v[106:107], v[102:103], s[0:1]
	v_add_f64 v[68:69], v[72:73], v[68:69]
	v_add_f64 v[70:71], v[74:75], v[70:71]
	;; [unrolled: 1-line block ×4, first 2 shown]
	v_mul_f64 v[92:93], v[76:77], s[16:17]
	v_mul_f64 v[94:95], v[78:79], s[16:17]
	v_fma_f64 v[72:73], v[76:77], s[16:17], v[84:85]
	v_fma_f64 v[74:75], v[78:79], s[16:17], v[86:87]
	;; [unrolled: 1-line block ×4, first 2 shown]
	v_fma_f64 v[96:97], v[100:101], s[0:1], -v[96:97]
	v_fma_f64 v[98:99], v[102:103], s[0:1], -v[98:99]
	;; [unrolled: 1-line block ×6, first 2 shown]
	v_fma_f64 v[80:81], v[80:81], s[10:11], v[60:61]
	v_fma_f64 v[82:83], v[82:83], s[10:11], v[62:63]
	v_fma_f64 v[88:89], v[88:89], s[14:15], -v[92:93]
	v_fma_f64 v[90:91], v[90:91], s[14:15], -v[94:95]
	v_fma_f64 v[92:93], v[68:69], s[24:25], v[76:77]
	v_fma_f64 v[94:95], v[70:71], s[24:25], v[78:79]
	;; [unrolled: 1-line block ×6, first 2 shown]
	v_add_f64 v[100:101], v[72:73], v[80:81]
	v_add_f64 v[102:103], v[74:75], v[82:83]
	;; [unrolled: 1-line block ×7, first 2 shown]
	v_add_f64 v[66:67], v[102:103], -v[92:93]
	v_add_f64 v[68:69], v[98:99], v[84:85]
	v_add_f64 v[70:71], v[86:87], -v[96:97]
	v_add_f64 v[72:73], v[80:81], -v[76:77]
	v_add_f64 v[74:75], v[78:79], v[82:83]
	v_add_f64 v[76:77], v[76:77], v[80:81]
	v_add_f64 v[78:79], v[82:83], -v[78:79]
	v_add_f64 v[80:81], v[84:85], -v[98:99]
	v_add_f64 v[82:83], v[96:97], v[86:87]
	v_add_f64 v[84:85], v[100:101], -v[94:95]
	v_add_f64 v[86:87], v[92:93], v[102:103]
	ds_store_b128 v182, v[60:63]
	ds_store_b128 v182, v[64:67] offset:2048
	ds_store_b128 v182, v[68:71] offset:4096
	;; [unrolled: 1-line block ×6, first 2 shown]
	s_and_saveexec_b32 s26, vcc_lo
	s_cbranch_execz .LBB0_9
; %bb.8:
	v_mul_f64 v[60:61], v[42:43], v[140:141]
	v_mul_f64 v[62:63], v[38:39], v[120:121]
	;; [unrolled: 1-line block ×12, first 2 shown]
	v_fma_f64 v[60:61], v[40:41], v[142:143], -v[60:61]
	v_fma_f64 v[62:63], v[36:37], v[122:123], -v[62:63]
	;; [unrolled: 1-line block ×4, first 2 shown]
	v_fma_f64 v[36:37], v[36:37], v[120:121], v[38:39]
	v_fma_f64 v[38:39], v[40:41], v[140:141], v[42:43]
	;; [unrolled: 1-line block ×6, first 2 shown]
	v_fma_f64 v[48:49], v[48:49], v[130:131], -v[50:51]
	v_fma_f64 v[44:45], v[44:45], v[134:135], -v[46:47]
	v_add_f64 v[46:47], v[62:63], v[60:61]
	v_add_f64 v[50:51], v[66:67], v[64:65]
	v_add_f64 v[52:53], v[36:37], v[38:39]
	v_add_f64 v[36:37], v[36:37], -v[38:39]
	v_add_f64 v[54:55], v[32:33], v[34:35]
	v_add_f64 v[32:33], v[32:33], -v[34:35]
	v_add_f64 v[68:69], v[40:41], -v[42:43]
	v_add_f64 v[40:41], v[42:43], v[40:41]
	v_add_f64 v[34:35], v[48:49], v[44:45]
	v_add_f64 v[42:43], v[44:45], -v[48:49]
	v_add_f64 v[44:45], v[66:67], -v[64:65]
	;; [unrolled: 1-line block ×3, first 2 shown]
	v_add_f64 v[38:39], v[50:51], v[46:47]
	v_add_f64 v[60:61], v[54:55], v[52:53]
	v_add_f64 v[70:71], v[32:33], -v[36:37]
	v_add_f64 v[62:63], v[68:69], -v[32:33]
	;; [unrolled: 1-line block ×8, first 2 shown]
	v_add_f64 v[68:69], v[68:69], v[32:33]
	v_add_f64 v[44:45], v[42:43], v[44:45]
	v_add_f64 v[42:43], v[48:49], -v[42:43]
	v_add_f64 v[46:47], v[50:51], -v[46:47]
	;; [unrolled: 1-line block ×3, first 2 shown]
	v_add_f64 v[38:39], v[34:35], v[38:39]
	v_add_f64 v[60:61], v[40:41], v[60:61]
	v_add_f64 v[40:41], v[40:41], -v[54:55]
	v_mul_f64 v[62:63], v[62:63], s[12:13]
	v_mul_f64 v[66:67], v[66:67], s[8:9]
	;; [unrolled: 1-line block ×5, first 2 shown]
	v_add_f64 v[36:37], v[68:69], v[36:37]
	v_add_f64 v[44:45], v[44:45], v[48:49]
	;; [unrolled: 1-line block ×3, first 2 shown]
	v_mul_f64 v[58:59], v[74:75], s[12:13]
	v_mul_f64 v[74:75], v[76:77], s[0:1]
	v_add_f64 v[32:33], v[56:57], v[60:61]
	v_mul_f64 v[54:55], v[40:41], s[16:17]
	v_fma_f64 v[48:49], v[78:79], s[20:21], v[62:63]
	v_fma_f64 v[40:41], v[40:41], s[16:17], v[66:67]
	;; [unrolled: 1-line block ×3, first 2 shown]
	v_fma_f64 v[68:69], v[78:79], s[22:23], -v[80:81]
	v_fma_f64 v[64:65], v[46:47], s[18:19], -v[64:65]
	;; [unrolled: 1-line block ×5, first 2 shown]
	v_fma_f64 v[38:39], v[38:39], s[10:11], v[34:35]
	v_fma_f64 v[50:51], v[42:43], s[20:21], v[58:59]
	v_fma_f64 v[42:43], v[42:43], s[22:23], -v[74:75]
	v_fma_f64 v[58:59], v[76:77], s[0:1], -v[58:59]
	v_fma_f64 v[60:61], v[60:61], s[10:11], v[32:33]
	v_fma_f64 v[52:53], v[52:53], s[14:15], -v[54:55]
	v_fma_f64 v[48:49], v[36:37], s[24:25], v[48:49]
	v_fma_f64 v[54:55], v[36:37], s[24:25], v[68:69]
	;; [unrolled: 1-line block ×3, first 2 shown]
	v_add_f64 v[56:57], v[56:57], v[38:39]
	v_fma_f64 v[68:69], v[44:45], s[24:25], v[50:51]
	v_add_f64 v[62:63], v[64:65], v[38:39]
	v_fma_f64 v[70:71], v[44:45], s[24:25], v[42:43]
	v_add_f64 v[72:73], v[40:41], v[60:61]
	v_add_f64 v[40:41], v[66:67], v[60:61]
	;; [unrolled: 1-line block ×3, first 2 shown]
	v_fma_f64 v[44:45], v[44:45], s[24:25], v[58:59]
	v_add_f64 v[60:61], v[52:53], v[60:61]
	v_add_f64 v[38:39], v[48:49], v[56:57]
	v_add_f64 v[58:59], v[56:57], -v[48:49]
	v_add_f64 v[42:43], v[54:55], v[62:63]
	v_add_f64 v[54:55], v[62:63], -v[54:55]
	v_add_f64 v[56:57], v[68:69], v[72:73]
	v_add_f64 v[52:53], v[70:71], v[40:41]
	;; [unrolled: 1-line block ×3, first 2 shown]
	v_add_f64 v[46:47], v[64:65], -v[36:37]
	v_add_f64 v[48:49], v[60:61], -v[44:45]
	v_add_f64 v[44:45], v[44:45], v[60:61]
	v_add_f64 v[40:41], v[40:41], -v[70:71]
	v_add_f64 v[36:37], v[72:73], -v[68:69]
	ds_store_b128 v182, v[32:35] offset:1792
	ds_store_b128 v182, v[56:59] offset:3840
	;; [unrolled: 1-line block ×7, first 2 shown]
.LBB0_9:
	s_or_b32 exec_lo, exec_lo, s26
	s_waitcnt lgkmcnt(0)
	s_barrier
	buffer_gl0_inv
	ds_load_b128 v[32:35], v182
	ds_load_b128 v[36:39], v182 offset:7168
	ds_load_b128 v[40:43], v182 offset:1792
	;; [unrolled: 1-line block ×7, first 2 shown]
	v_mad_u64_u32 v[80:81], null, s6, v176, 0
	v_mad_u64_u32 v[82:83], null, s4, v181, 0
	s_mov_b32 s0, 0x92492492
	s_mov_b32 s1, 0x3f524924
	s_mul_i32 s6, s5, 0x1c00
	s_mul_i32 s8, s4, 0x1c00
	s_mul_hi_u32 s9, s4, 0xffffeb00
	s_mul_i32 s10, s4, 0xffffeb00
	s_delay_alu instid0(VALU_DEP_1)
	v_mad_u64_u32 v[84:85], null, s7, v176, v[81:82]
	s_waitcnt lgkmcnt(7)
	v_mul_f64 v[64:65], v[2:3], v[34:35]
	v_mul_f64 v[2:3], v[2:3], v[32:33]
	s_waitcnt lgkmcnt(6)
	v_mul_f64 v[66:67], v[22:23], v[38:39]
	v_mul_f64 v[22:23], v[22:23], v[36:37]
	;; [unrolled: 3-line block ×8, first 2 shown]
	v_mov_b32_e32 v81, v83
	s_mul_hi_u32 s7, s4, 0x1c00
	s_delay_alu instid0(SALU_CYCLE_1) | instskip(NEXT) | instid1(VALU_DEP_1)
	s_add_i32 s7, s7, s6
	v_mad_u64_u32 v[85:86], null, s5, v181, v[81:82]
	v_mov_b32_e32 v81, v84
	s_mulk_i32 s5, 0xeb00
	s_delay_alu instid0(VALU_DEP_2)
	v_mov_b32_e32 v83, v85
	v_fma_f64 v[32:33], v[0:1], v[32:33], v[64:65]
	v_fma_f64 v[2:3], v[0:1], v[34:35], -v[2:3]
	v_fma_f64 v[34:35], v[20:21], v[36:37], v[66:67]
	v_fma_f64 v[20:21], v[20:21], v[38:39], -v[22:23]
	;; [unrolled: 2-line block ×8, first 2 shown]
	v_lshlrev_b64 v[0:1], 4, v[80:81]
	v_lshlrev_b64 v[4:5], 4, v[82:83]
	s_delay_alu instid0(VALU_DEP_2) | instskip(NEXT) | instid1(VALU_DEP_3)
	v_add_co_u32 v0, vcc_lo, s2, v0
	v_add_co_ci_u32_e32 v1, vcc_lo, s3, v1, vcc_lo
	s_sub_i32 s2, s9, s4
	s_delay_alu instid0(VALU_DEP_2) | instskip(NEXT) | instid1(VALU_DEP_2)
	v_add_co_u32 v50, vcc_lo, v0, v4
	v_add_co_ci_u32_e32 v51, vcc_lo, v1, v5, vcc_lo
	s_add_i32 s2, s2, s5
	s_delay_alu instid0(VALU_DEP_2) | instskip(NEXT) | instid1(VALU_DEP_2)
	v_add_co_u32 v52, vcc_lo, v50, s8
	v_add_co_ci_u32_e32 v53, vcc_lo, s7, v51, vcc_lo
	v_mul_f64 v[0:1], v[32:33], s[0:1]
	v_mul_f64 v[2:3], v[2:3], s[0:1]
	;; [unrolled: 1-line block ×16, first 2 shown]
	v_add_co_u32 v32, vcc_lo, v52, s10
	v_add_co_ci_u32_e32 v33, vcc_lo, s2, v53, vcc_lo
	s_delay_alu instid0(VALU_DEP_2) | instskip(NEXT) | instid1(VALU_DEP_2)
	v_add_co_u32 v34, vcc_lo, v32, s8
	v_add_co_ci_u32_e32 v35, vcc_lo, s7, v33, vcc_lo
	s_delay_alu instid0(VALU_DEP_2) | instskip(NEXT) | instid1(VALU_DEP_2)
	;; [unrolled: 3-line block ×5, first 2 shown]
	v_add_co_u32 v42, vcc_lo, v40, s8
	v_add_co_ci_u32_e32 v43, vcc_lo, s7, v41, vcc_lo
	s_clause 0x4
	global_store_b128 v[50:51], v[0:3], off
	global_store_b128 v[52:53], v[4:7], off
	;; [unrolled: 1-line block ×8, first 2 shown]
.LBB0_10:
	s_nop 0
	s_sendmsg sendmsg(MSG_DEALLOC_VGPRS)
	s_endpgm
	.section	.rodata,"a",@progbits
	.p2align	6, 0x0
	.amdhsa_kernel bluestein_single_back_len896_dim1_dp_op_CI_CI
		.amdhsa_group_segment_fixed_size 14336
		.amdhsa_private_segment_fixed_size 0
		.amdhsa_kernarg_size 104
		.amdhsa_user_sgpr_count 15
		.amdhsa_user_sgpr_dispatch_ptr 0
		.amdhsa_user_sgpr_queue_ptr 0
		.amdhsa_user_sgpr_kernarg_segment_ptr 1
		.amdhsa_user_sgpr_dispatch_id 0
		.amdhsa_user_sgpr_private_segment_size 0
		.amdhsa_wavefront_size32 1
		.amdhsa_uses_dynamic_stack 0
		.amdhsa_enable_private_segment 0
		.amdhsa_system_sgpr_workgroup_id_x 1
		.amdhsa_system_sgpr_workgroup_id_y 0
		.amdhsa_system_sgpr_workgroup_id_z 0
		.amdhsa_system_sgpr_workgroup_info 0
		.amdhsa_system_vgpr_workitem_id 0
		.amdhsa_next_free_vgpr 255
		.amdhsa_next_free_sgpr 27
		.amdhsa_reserve_vcc 1
		.amdhsa_float_round_mode_32 0
		.amdhsa_float_round_mode_16_64 0
		.amdhsa_float_denorm_mode_32 3
		.amdhsa_float_denorm_mode_16_64 3
		.amdhsa_dx10_clamp 1
		.amdhsa_ieee_mode 1
		.amdhsa_fp16_overflow 0
		.amdhsa_workgroup_processor_mode 1
		.amdhsa_memory_ordered 1
		.amdhsa_forward_progress 0
		.amdhsa_shared_vgpr_count 0
		.amdhsa_exception_fp_ieee_invalid_op 0
		.amdhsa_exception_fp_denorm_src 0
		.amdhsa_exception_fp_ieee_div_zero 0
		.amdhsa_exception_fp_ieee_overflow 0
		.amdhsa_exception_fp_ieee_underflow 0
		.amdhsa_exception_fp_ieee_inexact 0
		.amdhsa_exception_int_div_zero 0
	.end_amdhsa_kernel
	.text
.Lfunc_end0:
	.size	bluestein_single_back_len896_dim1_dp_op_CI_CI, .Lfunc_end0-bluestein_single_back_len896_dim1_dp_op_CI_CI
                                        ; -- End function
	.section	.AMDGPU.csdata,"",@progbits
; Kernel info:
; codeLenInByte = 13460
; NumSgprs: 29
; NumVgprs: 255
; ScratchSize: 0
; MemoryBound: 0
; FloatMode: 240
; IeeeMode: 1
; LDSByteSize: 14336 bytes/workgroup (compile time only)
; SGPRBlocks: 3
; VGPRBlocks: 31
; NumSGPRsForWavesPerEU: 29
; NumVGPRsForWavesPerEU: 255
; Occupancy: 5
; WaveLimiterHint : 1
; COMPUTE_PGM_RSRC2:SCRATCH_EN: 0
; COMPUTE_PGM_RSRC2:USER_SGPR: 15
; COMPUTE_PGM_RSRC2:TRAP_HANDLER: 0
; COMPUTE_PGM_RSRC2:TGID_X_EN: 1
; COMPUTE_PGM_RSRC2:TGID_Y_EN: 0
; COMPUTE_PGM_RSRC2:TGID_Z_EN: 0
; COMPUTE_PGM_RSRC2:TIDIG_COMP_CNT: 0
	.text
	.p2alignl 7, 3214868480
	.fill 96, 4, 3214868480
	.type	__hip_cuid_63b42a3eefddefca,@object ; @__hip_cuid_63b42a3eefddefca
	.section	.bss,"aw",@nobits
	.globl	__hip_cuid_63b42a3eefddefca
__hip_cuid_63b42a3eefddefca:
	.byte	0                               ; 0x0
	.size	__hip_cuid_63b42a3eefddefca, 1

	.ident	"AMD clang version 19.0.0git (https://github.com/RadeonOpenCompute/llvm-project roc-6.4.0 25133 c7fe45cf4b819c5991fe208aaa96edf142730f1d)"
	.section	".note.GNU-stack","",@progbits
	.addrsig
	.addrsig_sym __hip_cuid_63b42a3eefddefca
	.amdgpu_metadata
---
amdhsa.kernels:
  - .args:
      - .actual_access:  read_only
        .address_space:  global
        .offset:         0
        .size:           8
        .value_kind:     global_buffer
      - .actual_access:  read_only
        .address_space:  global
        .offset:         8
        .size:           8
        .value_kind:     global_buffer
      - .actual_access:  read_only
        .address_space:  global
        .offset:         16
        .size:           8
        .value_kind:     global_buffer
      - .actual_access:  read_only
        .address_space:  global
        .offset:         24
        .size:           8
        .value_kind:     global_buffer
      - .actual_access:  read_only
        .address_space:  global
        .offset:         32
        .size:           8
        .value_kind:     global_buffer
      - .offset:         40
        .size:           8
        .value_kind:     by_value
      - .address_space:  global
        .offset:         48
        .size:           8
        .value_kind:     global_buffer
      - .address_space:  global
        .offset:         56
        .size:           8
        .value_kind:     global_buffer
      - .address_space:  global
        .offset:         64
        .size:           8
        .value_kind:     global_buffer
      - .address_space:  global
        .offset:         72
        .size:           8
        .value_kind:     global_buffer
      - .offset:         80
        .size:           4
        .value_kind:     by_value
      - .address_space:  global
        .offset:         88
        .size:           8
        .value_kind:     global_buffer
      - .address_space:  global
        .offset:         96
        .size:           8
        .value_kind:     global_buffer
    .group_segment_fixed_size: 14336
    .kernarg_segment_align: 8
    .kernarg_segment_size: 104
    .language:       OpenCL C
    .language_version:
      - 2
      - 0
    .max_flat_workgroup_size: 112
    .name:           bluestein_single_back_len896_dim1_dp_op_CI_CI
    .private_segment_fixed_size: 0
    .sgpr_count:     29
    .sgpr_spill_count: 0
    .symbol:         bluestein_single_back_len896_dim1_dp_op_CI_CI.kd
    .uniform_work_group_size: 1
    .uses_dynamic_stack: false
    .vgpr_count:     255
    .vgpr_spill_count: 0
    .wavefront_size: 32
    .workgroup_processor_mode: 1
amdhsa.target:   amdgcn-amd-amdhsa--gfx1100
amdhsa.version:
  - 1
  - 2
...

	.end_amdgpu_metadata
